;; amdgpu-corpus repo=ROCm/rocFFT kind=compiled arch=gfx1201 opt=O3
	.text
	.amdgcn_target "amdgcn-amd-amdhsa--gfx1201"
	.amdhsa_code_object_version 6
	.protected	fft_rtc_back_len78_factors_6_13_wgs_247_tpt_13_half_ip_CI_unitstride_sbrr_C2R_dirReg ; -- Begin function fft_rtc_back_len78_factors_6_13_wgs_247_tpt_13_half_ip_CI_unitstride_sbrr_C2R_dirReg
	.globl	fft_rtc_back_len78_factors_6_13_wgs_247_tpt_13_half_ip_CI_unitstride_sbrr_C2R_dirReg
	.p2align	8
	.type	fft_rtc_back_len78_factors_6_13_wgs_247_tpt_13_half_ip_CI_unitstride_sbrr_C2R_dirReg,@function
fft_rtc_back_len78_factors_6_13_wgs_247_tpt_13_half_ip_CI_unitstride_sbrr_C2R_dirReg: ; @fft_rtc_back_len78_factors_6_13_wgs_247_tpt_13_half_ip_CI_unitstride_sbrr_C2R_dirReg
; %bb.0:
	s_load_b128 s[4:7], s[0:1], 0x0
	v_mul_u32_u24_e32 v1, 0x13b2, v0
	s_clause 0x1
	s_load_b64 s[8:9], s[0:1], 0x50
	s_load_b64 s[10:11], s[0:1], 0x18
	v_mov_b32_e32 v5, 0
	v_lshrrev_b32_e32 v1, 16, v1
	s_delay_alu instid0(VALU_DEP_1) | instskip(SKIP_3) | instid1(VALU_DEP_1)
	v_mad_co_u64_u32 v[1:2], null, ttmp9, 19, v[1:2]
	v_mov_b32_e32 v3, 0
	v_mov_b32_e32 v4, 0
	;; [unrolled: 1-line block ×4, first 2 shown]
	s_wait_kmcnt 0x0
	v_cmp_lt_u64_e64 s2, s[6:7], 2
	v_mov_b32_e32 v9, v1
	s_delay_alu instid0(VALU_DEP_2)
	s_and_b32 vcc_lo, exec_lo, s2
	s_cbranch_vccnz .LBB0_8
; %bb.1:
	s_load_b64 s[2:3], s[0:1], 0x10
	v_dual_mov_b32 v3, 0 :: v_dual_mov_b32 v8, v2
	v_dual_mov_b32 v4, 0 :: v_dual_mov_b32 v7, v1
	s_add_nc_u64 s[12:13], s[10:11], 8
	s_mov_b64 s[14:15], 1
	s_wait_kmcnt 0x0
	s_add_nc_u64 s[16:17], s[2:3], 8
	s_mov_b32 s3, 0
.LBB0_2:                                ; =>This Inner Loop Header: Depth=1
	s_load_b64 s[18:19], s[16:17], 0x0
                                        ; implicit-def: $vgpr9_vgpr10
	s_mov_b32 s2, exec_lo
	s_wait_kmcnt 0x0
	v_or_b32_e32 v6, s19, v8
	s_delay_alu instid0(VALU_DEP_1)
	v_cmpx_ne_u64_e32 0, v[5:6]
	s_wait_alu 0xfffe
	s_xor_b32 s20, exec_lo, s2
	s_cbranch_execz .LBB0_4
; %bb.3:                                ;   in Loop: Header=BB0_2 Depth=1
	s_cvt_f32_u32 s2, s18
	s_cvt_f32_u32 s21, s19
	s_sub_nc_u64 s[24:25], 0, s[18:19]
	s_wait_alu 0xfffe
	s_delay_alu instid0(SALU_CYCLE_1) | instskip(SKIP_1) | instid1(SALU_CYCLE_2)
	s_fmamk_f32 s2, s21, 0x4f800000, s2
	s_wait_alu 0xfffe
	v_s_rcp_f32 s2, s2
	s_delay_alu instid0(TRANS32_DEP_1) | instskip(SKIP_1) | instid1(SALU_CYCLE_2)
	s_mul_f32 s2, s2, 0x5f7ffffc
	s_wait_alu 0xfffe
	s_mul_f32 s21, s2, 0x2f800000
	s_wait_alu 0xfffe
	s_delay_alu instid0(SALU_CYCLE_2) | instskip(SKIP_1) | instid1(SALU_CYCLE_2)
	s_trunc_f32 s21, s21
	s_wait_alu 0xfffe
	s_fmamk_f32 s2, s21, 0xcf800000, s2
	s_cvt_u32_f32 s23, s21
	s_wait_alu 0xfffe
	s_delay_alu instid0(SALU_CYCLE_1) | instskip(SKIP_1) | instid1(SALU_CYCLE_2)
	s_cvt_u32_f32 s22, s2
	s_wait_alu 0xfffe
	s_mul_u64 s[26:27], s[24:25], s[22:23]
	s_wait_alu 0xfffe
	s_mul_hi_u32 s29, s22, s27
	s_mul_i32 s28, s22, s27
	s_mul_hi_u32 s2, s22, s26
	s_mul_i32 s30, s23, s26
	s_wait_alu 0xfffe
	s_add_nc_u64 s[28:29], s[2:3], s[28:29]
	s_mul_hi_u32 s21, s23, s26
	s_mul_hi_u32 s31, s23, s27
	s_add_co_u32 s2, s28, s30
	s_wait_alu 0xfffe
	s_add_co_ci_u32 s2, s29, s21
	s_mul_i32 s26, s23, s27
	s_add_co_ci_u32 s27, s31, 0
	s_wait_alu 0xfffe
	s_add_nc_u64 s[26:27], s[2:3], s[26:27]
	s_wait_alu 0xfffe
	v_add_co_u32 v2, s2, s22, s26
	s_delay_alu instid0(VALU_DEP_1) | instskip(SKIP_1) | instid1(VALU_DEP_1)
	s_cmp_lg_u32 s2, 0
	s_add_co_ci_u32 s23, s23, s27
	v_readfirstlane_b32 s22, v2
	s_wait_alu 0xfffe
	s_delay_alu instid0(VALU_DEP_1)
	s_mul_u64 s[24:25], s[24:25], s[22:23]
	s_wait_alu 0xfffe
	s_mul_hi_u32 s27, s22, s25
	s_mul_i32 s26, s22, s25
	s_mul_hi_u32 s2, s22, s24
	s_mul_i32 s28, s23, s24
	s_wait_alu 0xfffe
	s_add_nc_u64 s[26:27], s[2:3], s[26:27]
	s_mul_hi_u32 s21, s23, s24
	s_mul_hi_u32 s22, s23, s25
	s_wait_alu 0xfffe
	s_add_co_u32 s2, s26, s28
	s_add_co_ci_u32 s2, s27, s21
	s_mul_i32 s24, s23, s25
	s_add_co_ci_u32 s25, s22, 0
	s_wait_alu 0xfffe
	s_add_nc_u64 s[24:25], s[2:3], s[24:25]
	s_wait_alu 0xfffe
	v_add_co_u32 v2, s2, v2, s24
	s_delay_alu instid0(VALU_DEP_1) | instskip(SKIP_1) | instid1(VALU_DEP_1)
	s_cmp_lg_u32 s2, 0
	s_add_co_ci_u32 s2, s23, s25
	v_mul_hi_u32 v6, v7, v2
	s_wait_alu 0xfffe
	v_mad_co_u64_u32 v[9:10], null, v7, s2, 0
	v_mad_co_u64_u32 v[11:12], null, v8, v2, 0
	;; [unrolled: 1-line block ×3, first 2 shown]
	s_delay_alu instid0(VALU_DEP_3) | instskip(SKIP_1) | instid1(VALU_DEP_4)
	v_add_co_u32 v2, vcc_lo, v6, v9
	s_wait_alu 0xfffd
	v_add_co_ci_u32_e32 v6, vcc_lo, 0, v10, vcc_lo
	s_delay_alu instid0(VALU_DEP_2) | instskip(SKIP_1) | instid1(VALU_DEP_2)
	v_add_co_u32 v2, vcc_lo, v2, v11
	s_wait_alu 0xfffd
	v_add_co_ci_u32_e32 v2, vcc_lo, v6, v12, vcc_lo
	s_wait_alu 0xfffd
	v_add_co_ci_u32_e32 v6, vcc_lo, 0, v14, vcc_lo
	s_delay_alu instid0(VALU_DEP_2) | instskip(SKIP_1) | instid1(VALU_DEP_2)
	v_add_co_u32 v2, vcc_lo, v2, v13
	s_wait_alu 0xfffd
	v_add_co_ci_u32_e32 v6, vcc_lo, 0, v6, vcc_lo
	s_delay_alu instid0(VALU_DEP_2) | instskip(SKIP_1) | instid1(VALU_DEP_3)
	v_mul_lo_u32 v11, s19, v2
	v_mad_co_u64_u32 v[9:10], null, s18, v2, 0
	v_mul_lo_u32 v12, s18, v6
	s_delay_alu instid0(VALU_DEP_2) | instskip(NEXT) | instid1(VALU_DEP_2)
	v_sub_co_u32 v9, vcc_lo, v7, v9
	v_add3_u32 v10, v10, v12, v11
	s_delay_alu instid0(VALU_DEP_1) | instskip(SKIP_1) | instid1(VALU_DEP_1)
	v_sub_nc_u32_e32 v11, v8, v10
	s_wait_alu 0xfffd
	v_subrev_co_ci_u32_e64 v11, s2, s19, v11, vcc_lo
	v_add_co_u32 v12, s2, v2, 2
	s_wait_alu 0xf1ff
	v_add_co_ci_u32_e64 v13, s2, 0, v6, s2
	v_sub_co_u32 v14, s2, v9, s18
	v_sub_co_ci_u32_e32 v10, vcc_lo, v8, v10, vcc_lo
	s_wait_alu 0xf1ff
	v_subrev_co_ci_u32_e64 v11, s2, 0, v11, s2
	s_delay_alu instid0(VALU_DEP_3) | instskip(NEXT) | instid1(VALU_DEP_3)
	v_cmp_le_u32_e32 vcc_lo, s18, v14
	v_cmp_eq_u32_e64 s2, s19, v10
	s_wait_alu 0xfffd
	v_cndmask_b32_e64 v14, 0, -1, vcc_lo
	v_cmp_le_u32_e32 vcc_lo, s19, v11
	s_wait_alu 0xfffd
	v_cndmask_b32_e64 v15, 0, -1, vcc_lo
	v_cmp_le_u32_e32 vcc_lo, s18, v9
	;; [unrolled: 3-line block ×3, first 2 shown]
	s_wait_alu 0xfffd
	v_cndmask_b32_e64 v16, 0, -1, vcc_lo
	v_cmp_eq_u32_e32 vcc_lo, s19, v11
	s_wait_alu 0xf1ff
	s_delay_alu instid0(VALU_DEP_2)
	v_cndmask_b32_e64 v9, v16, v9, s2
	s_wait_alu 0xfffd
	v_cndmask_b32_e32 v11, v15, v14, vcc_lo
	v_add_co_u32 v14, vcc_lo, v2, 1
	s_wait_alu 0xfffd
	v_add_co_ci_u32_e32 v15, vcc_lo, 0, v6, vcc_lo
	s_delay_alu instid0(VALU_DEP_3) | instskip(SKIP_1) | instid1(VALU_DEP_2)
	v_cmp_ne_u32_e32 vcc_lo, 0, v11
	s_wait_alu 0xfffd
	v_dual_cndmask_b32 v10, v15, v13 :: v_dual_cndmask_b32 v11, v14, v12
	v_cmp_ne_u32_e32 vcc_lo, 0, v9
	s_wait_alu 0xfffd
	s_delay_alu instid0(VALU_DEP_2) | instskip(NEXT) | instid1(VALU_DEP_3)
	v_cndmask_b32_e32 v10, v6, v10, vcc_lo
	v_cndmask_b32_e32 v9, v2, v11, vcc_lo
.LBB0_4:                                ;   in Loop: Header=BB0_2 Depth=1
	s_wait_alu 0xfffe
	s_and_not1_saveexec_b32 s2, s20
	s_cbranch_execz .LBB0_6
; %bb.5:                                ;   in Loop: Header=BB0_2 Depth=1
	v_cvt_f32_u32_e32 v2, s18
	s_sub_co_i32 s20, 0, s18
	s_delay_alu instid0(VALU_DEP_1) | instskip(NEXT) | instid1(TRANS32_DEP_1)
	v_rcp_iflag_f32_e32 v2, v2
	v_mul_f32_e32 v2, 0x4f7ffffe, v2
	s_delay_alu instid0(VALU_DEP_1) | instskip(SKIP_1) | instid1(VALU_DEP_1)
	v_cvt_u32_f32_e32 v2, v2
	s_wait_alu 0xfffe
	v_mul_lo_u32 v6, s20, v2
	s_delay_alu instid0(VALU_DEP_1) | instskip(NEXT) | instid1(VALU_DEP_1)
	v_mul_hi_u32 v6, v2, v6
	v_add_nc_u32_e32 v2, v2, v6
	s_delay_alu instid0(VALU_DEP_1) | instskip(NEXT) | instid1(VALU_DEP_1)
	v_mul_hi_u32 v2, v7, v2
	v_mul_lo_u32 v6, v2, s18
	v_add_nc_u32_e32 v9, 1, v2
	s_delay_alu instid0(VALU_DEP_2) | instskip(NEXT) | instid1(VALU_DEP_1)
	v_sub_nc_u32_e32 v6, v7, v6
	v_subrev_nc_u32_e32 v10, s18, v6
	v_cmp_le_u32_e32 vcc_lo, s18, v6
	s_wait_alu 0xfffd
	s_delay_alu instid0(VALU_DEP_2) | instskip(SKIP_2) | instid1(VALU_DEP_3)
	v_cndmask_b32_e32 v6, v6, v10, vcc_lo
	v_mov_b32_e32 v10, v5
	v_cndmask_b32_e32 v2, v2, v9, vcc_lo
	v_cmp_le_u32_e32 vcc_lo, s18, v6
	s_delay_alu instid0(VALU_DEP_2) | instskip(SKIP_1) | instid1(VALU_DEP_1)
	v_add_nc_u32_e32 v9, 1, v2
	s_wait_alu 0xfffd
	v_cndmask_b32_e32 v9, v2, v9, vcc_lo
.LBB0_6:                                ;   in Loop: Header=BB0_2 Depth=1
	s_wait_alu 0xfffe
	s_or_b32 exec_lo, exec_lo, s2
	s_load_b64 s[20:21], s[12:13], 0x0
	v_mul_lo_u32 v2, v10, s18
	v_mul_lo_u32 v6, v9, s19
	v_mad_co_u64_u32 v[11:12], null, v9, s18, 0
	s_add_nc_u64 s[14:15], s[14:15], 1
	s_add_nc_u64 s[12:13], s[12:13], 8
	s_wait_alu 0xfffe
	v_cmp_ge_u64_e64 s2, s[14:15], s[6:7]
	s_add_nc_u64 s[16:17], s[16:17], 8
	s_delay_alu instid0(VALU_DEP_2) | instskip(NEXT) | instid1(VALU_DEP_3)
	v_add3_u32 v2, v12, v6, v2
	v_sub_co_u32 v6, vcc_lo, v7, v11
	s_wait_alu 0xfffd
	s_delay_alu instid0(VALU_DEP_2) | instskip(SKIP_3) | instid1(VALU_DEP_2)
	v_sub_co_ci_u32_e32 v2, vcc_lo, v8, v2, vcc_lo
	s_and_b32 vcc_lo, exec_lo, s2
	s_wait_kmcnt 0x0
	v_mul_lo_u32 v7, s21, v6
	v_mul_lo_u32 v2, s20, v2
	v_mad_co_u64_u32 v[3:4], null, s20, v6, v[3:4]
	s_delay_alu instid0(VALU_DEP_1)
	v_add3_u32 v4, v7, v4, v2
	s_wait_alu 0xfffe
	s_cbranch_vccnz .LBB0_8
; %bb.7:                                ;   in Loop: Header=BB0_2 Depth=1
	v_dual_mov_b32 v7, v9 :: v_dual_mov_b32 v8, v10
	s_branch .LBB0_2
.LBB0_8:
	v_mul_hi_u32 v2, 0xaf286bcb, v1
	s_lshl_b64 s[2:3], s[6:7], 3
	s_load_b64 s[0:1], s[0:1], 0x20
	s_add_nc_u64 s[2:3], s[10:11], s[2:3]
	v_mul_hi_u32 v8, 0x13b13b14, v0
	s_load_b64 s[2:3], s[2:3], 0x0
	s_delay_alu instid0(VALU_DEP_2) | instskip(NEXT) | instid1(VALU_DEP_1)
	v_sub_nc_u32_e32 v5, v1, v2
	v_lshrrev_b32_e32 v5, 1, v5
	s_delay_alu instid0(VALU_DEP_1) | instskip(SKIP_2) | instid1(VALU_DEP_2)
	v_add_nc_u32_e32 v2, v5, v2
	s_wait_kmcnt 0x0
	v_cmp_gt_u64_e32 vcc_lo, s[0:1], v[9:10]
	v_lshrrev_b32_e32 v2, 4, v2
	v_mul_lo_u32 v5, s2, v10
	v_mul_lo_u32 v7, s3, v9
	s_delay_alu instid0(VALU_DEP_3) | instskip(SKIP_2) | instid1(VALU_DEP_1)
	v_mul_lo_u32 v6, v2, 19
	v_mad_co_u64_u32 v[2:3], null, s2, v9, v[3:4]
	v_mul_u32_u24_e32 v4, 13, v8
	v_sub_nc_u32_e32 v0, v0, v4
	s_delay_alu instid0(VALU_DEP_4) | instskip(NEXT) | instid1(VALU_DEP_4)
	v_sub_nc_u32_e32 v1, v1, v6
	v_add3_u32 v3, v7, v3, v5
	s_delay_alu instid0(VALU_DEP_2) | instskip(NEXT) | instid1(VALU_DEP_2)
	v_mul_u32_u24_e32 v7, 0x4f, v1
	v_lshlrev_b64_e32 v[2:3], 2, v[2:3]
	s_delay_alu instid0(VALU_DEP_2)
	v_lshlrev_b32_e32 v6, 2, v7
	s_and_saveexec_b32 s1, vcc_lo
	s_cbranch_execz .LBB0_12
; %bb.9:
	v_mov_b32_e32 v1, 0
	s_delay_alu instid0(VALU_DEP_3) | instskip(SKIP_2) | instid1(VALU_DEP_3)
	v_add_co_u32 v4, s0, s8, v2
	s_wait_alu 0xf1ff
	v_add_co_ci_u32_e64 v5, s0, s9, v3, s0
	v_lshlrev_b64_e32 v[8:9], 2, v[0:1]
	v_lshlrev_b32_e32 v1, 2, v0
	s_mov_b32 s2, exec_lo
	s_delay_alu instid0(VALU_DEP_1) | instskip(NEXT) | instid1(VALU_DEP_3)
	v_add3_u32 v1, 0, v6, v1
	v_add_co_u32 v8, s0, v4, v8
	s_wait_alu 0xf1ff
	v_add_co_ci_u32_e64 v9, s0, v5, v9, s0
	s_clause 0x5
	global_load_b32 v10, v[8:9], off
	global_load_b32 v11, v[8:9], off offset:52
	global_load_b32 v12, v[8:9], off offset:104
	;; [unrolled: 1-line block ×5, first 2 shown]
	s_wait_loadcnt 0x4
	ds_store_2addr_b32 v1, v10, v11 offset1:13
	s_wait_loadcnt 0x2
	ds_store_2addr_b32 v1, v12, v13 offset0:26 offset1:39
	s_wait_loadcnt 0x0
	ds_store_2addr_b32 v1, v14, v8 offset0:52 offset1:65
	v_cmpx_eq_u32_e32 12, v0
	s_cbranch_execz .LBB0_11
; %bb.10:
	global_load_b32 v4, v[4:5], off offset:312
	v_mov_b32_e32 v0, 12
	s_wait_loadcnt 0x0
	ds_store_b32 v1, v4 offset:264
.LBB0_11:
	s_wait_alu 0xfffe
	s_or_b32 exec_lo, exec_lo, s2
.LBB0_12:
	s_wait_alu 0xfffe
	s_or_b32 exec_lo, exec_lo, s1
	v_lshl_add_u32 v16, v7, 2, 0
	v_lshlrev_b32_e32 v7, 2, v0
	global_wb scope:SCOPE_SE
	s_wait_dscnt 0x0
	s_barrier_signal -1
	s_barrier_wait -1
	global_inv scope:SCOPE_SE
	v_add_nc_u32_e32 v17, v16, v7
	v_sub_nc_u32_e32 v8, v16, v7
	s_mov_b32 s1, exec_lo
	ds_load_u16 v1, v17
	ds_load_u16 v4, v8 offset:312
	s_wait_dscnt 0x0
	v_add_f16_e32 v10, v4, v1
	v_sub_f16_e32 v9, v1, v4
                                        ; implicit-def: $vgpr4_vgpr5
	v_cmpx_ne_u32_e32 0, v0
	s_wait_alu 0xfffe
	s_xor_b32 s1, exec_lo, s1
	s_cbranch_execz .LBB0_14
; %bb.13:
	v_mov_b32_e32 v1, 0
	s_delay_alu instid0(VALU_DEP_1) | instskip(NEXT) | instid1(VALU_DEP_1)
	v_lshlrev_b64_e32 v[4:5], 2, v[0:1]
	v_add_co_u32 v4, s0, s4, v4
	s_wait_alu 0xf1ff
	s_delay_alu instid0(VALU_DEP_2)
	v_add_co_ci_u32_e64 v5, s0, s5, v5, s0
	global_load_b32 v4, v[4:5], off offset:288
	ds_load_u16 v5, v8 offset:314
	ds_load_u16 v11, v17 offset:2
	s_wait_dscnt 0x0
	v_add_f16_e32 v12, v5, v11
	v_sub_f16_e32 v5, v11, v5
	s_wait_loadcnt 0x0
	v_lshrrev_b32_e32 v13, 16, v4
	s_delay_alu instid0(VALU_DEP_1) | instskip(NEXT) | instid1(VALU_DEP_3)
	v_fma_f16 v11, v9, v13, v10
	v_fma_f16 v14, v12, v13, v5
	v_fma_f16 v10, -v9, v13, v10
	v_fma_f16 v5, v12, v13, -v5
	s_delay_alu instid0(VALU_DEP_4) | instskip(NEXT) | instid1(VALU_DEP_4)
	v_fma_f16 v11, -v4, v12, v11
	v_fmac_f16_e32 v14, v9, v4
	s_delay_alu instid0(VALU_DEP_4) | instskip(NEXT) | instid1(VALU_DEP_4)
	v_fmac_f16_e32 v10, v4, v12
	v_fmac_f16_e32 v5, v9, v4
	s_delay_alu instid0(VALU_DEP_3) | instskip(NEXT) | instid1(VALU_DEP_2)
	v_pack_b32_f16 v9, v11, v14
	v_pack_b32_f16 v10, v10, v5
	v_dual_mov_b32 v5, v1 :: v_dual_mov_b32 v4, v0
	ds_store_b32 v17, v9
	ds_store_b32 v8, v10 offset:312
                                        ; implicit-def: $vgpr10
                                        ; implicit-def: $vgpr9
.LBB0_14:
	s_wait_alu 0xfffe
	s_and_not1_saveexec_b32 s0, s1
	s_cbranch_execz .LBB0_16
; %bb.15:
	v_pack_b32_f16 v1, v10, v9
	v_mov_b32_e32 v4, 0
	v_mov_b32_e32 v5, 0
	ds_store_b32 v17, v1
	ds_load_b32 v1, v16 offset:156
	s_wait_dscnt 0x0
	v_pk_mul_f16 v1, 0xc0004000, v1
	ds_store_b32 v16, v1 offset:156
.LBB0_16:
	s_wait_alu 0xfffe
	s_or_b32 exec_lo, exec_lo, s0
	v_lshlrev_b64_e32 v[4:5], 2, v[4:5]
	s_add_nc_u64 s[0:1], s[4:5], 0x120
                                        ; implicit-def: $vgpr24
                                        ; implicit-def: $vgpr37
                                        ; implicit-def: $vgpr34
                                        ; implicit-def: $vgpr32
                                        ; implicit-def: $vgpr29
                                        ; implicit-def: $vgpr31
                                        ; implicit-def: $vgpr38
	s_wait_alu 0xfffe
	s_delay_alu instid0(VALU_DEP_1) | instskip(SKIP_1) | instid1(VALU_DEP_2)
	v_add_co_u32 v4, s0, s0, v4
	s_wait_alu 0xf1ff
	v_add_co_ci_u32_e64 v5, s0, s1, v5, s0
	v_cmp_gt_u32_e64 s0, 6, v0
	s_clause 0x1
	global_load_b32 v1, v[4:5], off offset:52
	global_load_b32 v4, v[4:5], off offset:104
	ds_load_b32 v5, v17 offset:52
	ds_load_b32 v9, v8 offset:260
	s_wait_dscnt 0x1
	v_lshrrev_b32_e32 v10, 16, v5
	s_wait_dscnt 0x0
	v_lshrrev_b32_e32 v11, 16, v9
	v_add_f16_e32 v12, v5, v9
	v_sub_f16_e32 v5, v5, v9
	s_delay_alu instid0(VALU_DEP_3) | instskip(SKIP_3) | instid1(VALU_DEP_1)
	v_add_f16_e32 v9, v11, v10
	v_sub_f16_e32 v10, v10, v11
	s_wait_loadcnt 0x1
	v_lshrrev_b32_e32 v13, 16, v1
	v_fma_f16 v11, v5, v13, v12
	s_delay_alu instid0(VALU_DEP_3) | instskip(SKIP_2) | instid1(VALU_DEP_4)
	v_fma_f16 v14, v9, v13, v10
	v_fma_f16 v12, -v5, v13, v12
	v_fma_f16 v10, v9, v13, -v10
	v_fma_f16 v11, -v1, v9, v11
	s_delay_alu instid0(VALU_DEP_4) | instskip(NEXT) | instid1(VALU_DEP_4)
	v_fmac_f16_e32 v14, v5, v1
	v_fmac_f16_e32 v12, v1, v9
	s_delay_alu instid0(VALU_DEP_4) | instskip(NEXT) | instid1(VALU_DEP_3)
	v_fmac_f16_e32 v10, v5, v1
	v_pack_b32_f16 v1, v11, v14
	s_wait_loadcnt 0x0
	v_lshrrev_b32_e32 v11, 16, v4
	s_delay_alu instid0(VALU_DEP_3)
	v_pack_b32_f16 v5, v12, v10
	ds_store_b32 v17, v1 offset:52
	ds_store_b32 v8, v5 offset:260
	ds_load_b32 v1, v17 offset:104
	ds_load_b32 v5, v8 offset:208
	s_wait_dscnt 0x1
	v_lshrrev_b32_e32 v9, 16, v1
	s_wait_dscnt 0x0
	v_lshrrev_b32_e32 v10, 16, v5
	v_add_f16_e32 v12, v1, v5
	v_sub_f16_e32 v1, v1, v5
	s_delay_alu instid0(VALU_DEP_3) | instskip(SKIP_1) | instid1(VALU_DEP_3)
	v_add_f16_e32 v5, v10, v9
	v_sub_f16_e32 v9, v9, v10
	v_fma_f16 v10, v1, v11, v12
	v_fma_f16 v12, -v1, v11, v12
	s_delay_alu instid0(VALU_DEP_3) | instskip(SKIP_1) | instid1(VALU_DEP_4)
	v_fma_f16 v13, v5, v11, v9
	v_fma_f16 v9, v5, v11, -v9
	v_fma_f16 v10, -v4, v5, v10
	s_delay_alu instid0(VALU_DEP_4) | instskip(NEXT) | instid1(VALU_DEP_4)
	v_fmac_f16_e32 v12, v4, v5
	v_fmac_f16_e32 v13, v1, v4
	s_delay_alu instid0(VALU_DEP_4) | instskip(SKIP_1) | instid1(VALU_DEP_3)
	v_fmac_f16_e32 v9, v1, v4
	v_add3_u32 v1, 0, v7, v6
	v_pack_b32_f16 v4, v10, v13
	s_delay_alu instid0(VALU_DEP_3)
	v_pack_b32_f16 v5, v12, v9
	ds_store_b32 v17, v4 offset:104
	ds_store_b32 v8, v5 offset:208
	global_wb scope:SCOPE_SE
	s_wait_dscnt 0x0
	s_barrier_signal -1
	s_barrier_wait -1
	global_inv scope:SCOPE_SE
	global_wb scope:SCOPE_SE
	s_barrier_signal -1
	s_barrier_wait -1
	global_inv scope:SCOPE_SE
	ds_load_2addr_b32 v[4:5], v1 offset0:13 offset1:26
	ds_load_b32 v8, v17
	ds_load_2addr_b32 v[6:7], v1 offset0:39 offset1:52
	ds_load_b32 v9, v1 offset:260
	v_mad_u32_u24 v12, v0, 20, v1
	global_wb scope:SCOPE_SE
	s_wait_dscnt 0x0
	s_barrier_signal -1
	s_barrier_wait -1
	global_inv scope:SCOPE_SE
	v_pk_add_f16 v10, v8, v5
	v_pk_add_f16 v11, v4, v6
	;; [unrolled: 1-line block ×4, first 2 shown]
	v_pk_add_f16 v6, v6, v9 neg_lo:[0,1] neg_hi:[0,1]
	v_pk_add_f16 v5, v5, v7 neg_lo:[0,1] neg_hi:[0,1]
	v_pk_add_f16 v7, v10, v7
	v_pk_fma_f16 v4, v14, 0.5, v4 op_sel_hi:[1,0,1] neg_lo:[1,0,0] neg_hi:[1,0,0]
	v_pk_add_f16 v9, v11, v9
	v_pk_fma_f16 v8, v13, 0.5, v8 op_sel_hi:[1,0,1] neg_lo:[1,0,0] neg_hi:[1,0,0]
	s_delay_alu instid0(VALU_DEP_3) | instskip(SKIP_1) | instid1(VALU_DEP_4)
	v_pk_fma_f16 v10, 0x3aee, v6, v4 op_sel:[0,0,1] op_sel_hi:[0,1,0] neg_lo:[0,1,0] neg_hi:[0,1,0]
	v_pk_fma_f16 v6, 0x3aee, v6, v4 op_sel:[0,0,1] op_sel_hi:[0,1,0]
	v_pk_add_f16 v18, v7, v9
	s_delay_alu instid0(VALU_DEP_4)
	v_pk_fma_f16 v11, 0x3aee, v5, v8 op_sel:[0,0,1] op_sel_hi:[0,1,0] neg_lo:[0,1,0] neg_hi:[0,1,0]
	v_pk_fma_f16 v5, 0x3aee, v5, v8 op_sel:[0,0,1] op_sel_hi:[0,1,0]
	v_pk_add_f16 v4, v7, v9 neg_lo:[0,1] neg_hi:[0,1]
	v_pk_mul_f16 v7, 0x3aee, v10 op_sel_hi:[0,1]
	v_lshrrev_b32_e32 v8, 16, v10
	v_lshrrev_b32_e32 v9, 16, v6
	v_mul_f16_e32 v10, -0.5, v10
	v_mul_f16_e32 v13, 0x3aee, v6
	v_pk_fma_f16 v14, 0xb8003800, v6, v7 op_sel:[0,0,1] op_sel_hi:[1,1,0]
	v_pk_fma_f16 v6, 0xb8003800, v6, v7 op_sel:[0,0,1] op_sel_hi:[1,1,0] neg_lo:[0,0,1] neg_hi:[0,0,1]
	v_lshrrev_b32_e32 v7, 16, v11
	v_fmac_f16_e32 v10, 0x3aee, v9
	v_fma_f16 v8, v8, 0.5, -v13
	v_alignbit_b32 v9, v5, v11, 16
	v_bfi_b32 v13, 0xffff, v14, v6
	v_alignbit_b32 v15, v11, v5, 16
	v_add_f16_e32 v26, v11, v10
	v_pack_b32_f16 v11, v8, v14
	v_alignbit_b32 v6, v10, v6, 16
	v_pk_add_f16 v25, v5, v13
	v_add_f16_e32 v10, v7, v8
	v_lshrrev_b32_e32 v27, 16, v4
	v_pk_add_f16 v5, v9, v11 neg_lo:[0,1] neg_hi:[0,1]
	v_pk_add_f16 v6, v15, v6 neg_lo:[0,1] neg_hi:[0,1]
	v_alignbit_b32 v7, v26, v25, 16
	v_pack_b32_f16 v8, v10, v25
	v_lshrrev_b32_e32 v11, 16, v25
	v_lshrrev_b32_e32 v33, 16, v5
	;; [unrolled: 1-line block ×3, first 2 shown]
	ds_store_2addr_b32 v12, v18, v6 offset1:5
	ds_store_2addr_b32 v12, v8, v7 offset0:1 offset1:2
	ds_store_2addr_b32 v12, v4, v5 offset0:3 offset1:4
	global_wb scope:SCOPE_SE
	s_wait_dscnt 0x0
	s_barrier_signal -1
	s_barrier_wait -1
	global_inv scope:SCOPE_SE
                                        ; implicit-def: $vgpr15
                                        ; implicit-def: $vgpr13
                                        ; implicit-def: $vgpr9
	s_and_saveexec_b32 s1, s0
	s_cbranch_execz .LBB0_18
; %bb.17:
	ds_load_2addr_b32 v[8:9], v1 offset0:42 offset1:48
	ds_load_2addr_b32 v[12:13], v1 offset0:54 offset1:60
	;; [unrolled: 1-line block ×6, first 2 shown]
	ds_load_b32 v18, v17
	s_wait_dscnt 0x6
	v_lshrrev_b32_e32 v31, 16, v8
	v_lshrrev_b32_e32 v29, 16, v9
	s_wait_dscnt 0x5
	v_lshrrev_b32_e32 v32, 16, v12
	v_lshrrev_b32_e32 v34, 16, v13
	s_wait_dscnt 0x4
	v_lshrrev_b32_e32 v37, 16, v14
	v_lshrrev_b32_e32 v24, 16, v15
	s_wait_dscnt 0x3
	v_lshrrev_b32_e32 v25, 16, v10
	v_lshrrev_b32_e32 v26, 16, v11
	s_wait_dscnt 0x2
	v_lshrrev_b32_e32 v27, 16, v4
	v_lshrrev_b32_e32 v33, 16, v5
	s_wait_dscnt 0x1
	v_lshrrev_b32_e32 v35, 16, v6
	v_lshrrev_b32_e32 v38, 16, v7
.LBB0_18:
	s_wait_alu 0xfffe
	s_or_b32 exec_lo, exec_lo, s1
	global_wb scope:SCOPE_SE
	s_wait_dscnt 0x0
	s_barrier_signal -1
	s_barrier_wait -1
	global_inv scope:SCOPE_SE
	s_and_saveexec_b32 s1, s0
	s_cbranch_execz .LBB0_20
; %bb.19:
	v_and_b32_e32 v19, 0xff, v0
	s_delay_alu instid0(VALU_DEP_1) | instskip(NEXT) | instid1(VALU_DEP_1)
	v_mul_lo_u16 v19, 0xab, v19
	v_lshrrev_b16 v19, 10, v19
	s_delay_alu instid0(VALU_DEP_1) | instskip(NEXT) | instid1(VALU_DEP_1)
	v_mul_lo_u16 v19, v19, 6
	v_sub_nc_u16 v19, v0, v19
	s_delay_alu instid0(VALU_DEP_1) | instskip(NEXT) | instid1(VALU_DEP_1)
	v_mul_lo_u16 v19, v19, 12
	v_and_b32_e32 v19, 0xfc, v19
	s_delay_alu instid0(VALU_DEP_1)
	v_lshlrev_b32_e32 v19, 2, v19
	s_clause 0x2
	global_load_b128 v[39:42], v19, s[4:5]
	global_load_b128 v[43:46], v19, s[4:5] offset:16
	global_load_b128 v[47:50], v19, s[4:5] offset:32
	v_lshrrev_b32_e32 v19, 16, v18
	s_wait_loadcnt 0x2
	v_lshrrev_b32_e32 v20, 16, v39
	v_lshrrev_b32_e32 v21, 16, v40
	s_wait_loadcnt 0x0
	v_lshrrev_b32_e32 v36, 16, v50
	v_lshrrev_b32_e32 v22, 16, v41
	v_lshrrev_b32_e32 v23, 16, v42
	v_lshrrev_b32_e32 v28, 16, v43
	v_lshrrev_b32_e32 v30, 16, v44
	v_lshrrev_b32_e32 v51, 16, v45
	v_lshrrev_b32_e32 v52, 16, v46
	v_lshrrev_b32_e32 v53, 16, v47
	v_lshrrev_b32_e32 v54, 16, v48
	v_lshrrev_b32_e32 v55, 16, v49
	v_mul_f16_e32 v56, v15, v36
	v_mul_f16_e32 v57, v10, v20
	;; [unrolled: 1-line block ×24, first 2 shown]
	v_fma_f16 v24, v24, v50, -v56
	v_fma_f16 v51, v25, v39, -v57
	v_fmac_f16_e32 v58, v10, v39
	v_fmac_f16_e32 v20, v15, v50
	v_fma_f16 v25, v37, v49, -v59
	v_fma_f16 v50, v26, v40, -v60
	;; [unrolled: 1-line block ×3, first 2 shown]
	v_fmac_f16_e32 v28, v9, v46
	v_sub_f16_e32 v46, v51, v24
	v_fmac_f16_e32 v61, v11, v40
	v_fmac_f16_e32 v21, v14, v49
	v_fma_f16 v40, v27, v41, -v62
	v_fmac_f16_e32 v63, v4, v41
	v_fma_f16 v27, v32, v47, -v54
	v_fma_f16 v41, v33, v42, -v64
	v_fmac_f16_e32 v65, v5, v42
	v_fmac_f16_e32 v23, v12, v47
	v_fma_f16 v42, v35, v43, -v66
	v_fmac_f16_e32 v67, v6, v43
	v_add_f16_e32 v43, v51, v24
	v_sub_f16_e32 v15, v58, v20
	v_add_f16_e32 v14, v58, v20
	v_sub_f16_e32 v47, v50, v25
	v_add_f16_e32 v49, v18, v58
	v_mul_f16_e32 v58, 0xb3a8, v46
	v_fmac_f16_e32 v22, v13, v48
	v_fma_f16 v38, v38, v44, -v68
	v_fmac_f16_e32 v36, v7, v44
	v_add_f16_e32 v44, v50, v25
	v_add_f16_e32 v13, v61, v21
	;; [unrolled: 1-line block ×3, first 2 shown]
	v_mul_f16_e32 v59, 0x3770, v47
	v_mul_f16_e32 v68, 0xb9fd, v43
	v_fmamk_f16 v85, v14, 0xbbc4, v58
	v_fma_f16 v26, v34, v48, -v55
	v_fma_f16 v32, v31, v45, -v52
	v_fmac_f16_e32 v30, v8, v45
	v_sub_f16_e32 v8, v61, v21
	v_mul_f16_e32 v52, 0xbbc4, v43
	v_mul_f16_e32 v69, 0x2fb7, v44
	;; [unrolled: 1-line block ×3, first 2 shown]
	v_add_f16_e32 v50, v51, v50
	v_fmamk_f16 v86, v13, 0x3b15, v59
	v_fmamk_f16 v87, v15, 0x394e, v68
	v_add_f16_e32 v85, v18, v85
	v_add_f16_e32 v45, v40, v26
	v_sub_f16_e32 v48, v40, v26
	v_mul_f16_e32 v53, 0x3b15, v44
	v_mul_f16_e32 v73, 0xb5ac, v43
	;; [unrolled: 1-line block ×5, first 2 shown]
	v_add_f16_e32 v49, v49, v61
	v_fmamk_f16 v51, v15, 0x33a8, v52
	v_fmamk_f16 v88, v8, 0xbbf1, v69
	v_add_f16_e32 v40, v50, v40
	v_add_f16_e32 v87, v19, v87
	;; [unrolled: 1-line block ×3, first 2 shown]
	v_fmamk_f16 v86, v15, 0x3a95, v81
	v_fma_f16 v58, v14, 0xbbc4, -v58
	v_fmac_f16_e32 v81, 0xba95, v15
	v_sub_f16_e32 v7, v63, v22
	v_add_f16_e32 v37, v41, v27
	v_add_f16_e32 v12, v63, v22
	v_sub_f16_e32 v39, v41, v27
	v_mul_f16_e32 v70, 0x388b, v45
	v_mul_f16_e32 v71, 0xb94e, v46
	;; [unrolled: 1-line block ×6, first 2 shown]
	v_fmamk_f16 v61, v8, 0xb770, v53
	v_fmamk_f16 v91, v15, 0x3b7b, v73
	v_add_f16_e32 v49, v49, v63
	v_fmamk_f16 v63, v14, 0xb5ac, v75
	v_add_f16_e32 v51, v19, v51
	v_add_f16_e32 v40, v40, v41
	v_fmamk_f16 v41, v14, 0x2fb7, v79
	v_add_f16_e32 v87, v88, v87
	v_fmamk_f16 v88, v8, 0x3b7b, v82
	v_fmac_f16_e32 v52, 0xb3a8, v15
	v_fma_f16 v59, v13, 0x3b15, -v59
	v_add_f16_e32 v58, v18, v58
	v_fmac_f16_e32 v73, 0xbb7b, v15
	v_fma_f16 v79, v14, 0x2fb7, -v79
	v_fmac_f16_e32 v82, 0xbb7b, v8
	v_add_f16_e32 v81, v19, v81
	v_mul_f16_e32 v60, 0xb94e, v48
	v_mul_f16_e32 v72, 0x3bf1, v47
	;; [unrolled: 1-line block ×5, first 2 shown]
	v_fmamk_f16 v89, v14, 0xb9fd, v71
	v_fmamk_f16 v92, v8, 0xb94e, v74
	;; [unrolled: 1-line block ×4, first 2 shown]
	v_add_f16_e32 v51, v61, v51
	v_fmamk_f16 v61, v13, 0xbbc4, v80
	v_add_f16_e32 v63, v18, v63
	v_add_f16_e32 v41, v18, v41
	v_fmac_f16_e32 v53, 0x3770, v8
	v_add_f16_e32 v52, v19, v52
	v_add_f16_e32 v58, v59, v58
	v_mul_f16_e32 v59, 0x3770, v48
	v_fma_f16 v71, v14, 0xb9fd, -v71
	v_fma_f16 v75, v14, 0xb5ac, -v75
	v_fmac_f16_e32 v74, 0x394e, v8
	v_add_f16_e32 v73, v19, v73
	v_fmac_f16_e32 v77, 0xbbf1, v15
	v_fma_f16 v80, v13, 0xbbc4, -v80
	v_add_f16_e32 v79, v18, v79
	v_add_f16_e32 v81, v82, v81
	v_fmamk_f16 v82, v7, 0x3a95, v70
	v_sub_f16_e32 v6, v65, v23
	v_add_f16_e32 v11, v65, v23
	v_mul_f16_e32 v54, 0xb9fd, v45
	v_mul_f16_e32 v84, 0xbb7b, v47
	;; [unrolled: 1-line block ×3, first 2 shown]
	v_fmamk_f16 v90, v13, 0x2fb7, v72
	v_add_f16_e32 v49, v49, v65
	v_fmamk_f16 v65, v8, 0x33a8, v78
	v_add_f16_e32 v89, v18, v89
	v_add_f16_e32 v91, v19, v91
	v_add_f16_e32 v63, v93, v63
	v_add_f16_e32 v86, v19, v86
	v_add_f16_e32 v41, v61, v41
	v_fmamk_f16 v61, v14, 0x3b15, v46
	v_fmac_f16_e32 v68, 0xb94e, v15
	v_add_f16_e32 v52, v53, v52
	v_mul_f16_e32 v53, 0x3b15, v45
	v_fma_f16 v72, v13, 0x2fb7, -v72
	v_add_f16_e32 v71, v18, v71
	v_fma_f16 v76, v13, 0xb9fd, -v76
	v_add_f16_e32 v75, v18, v75
	v_add_f16_e32 v73, v74, v73
	v_mul_f16_e32 v74, 0xbbc4, v45
	v_fmac_f16_e32 v78, 0xb3a8, v8
	v_add_f16_e32 v77, v19, v77
	v_add_f16_e32 v79, v80, v79
	v_fmamk_f16 v80, v12, 0xb9fd, v60
	v_add_f16_e32 v82, v82, v87
	v_fmamk_f16 v87, v12, 0x3b15, v59
	v_sub_f16_e32 v5, v67, v28
	v_add_f16_e32 v10, v67, v28
	v_add_f16_e32 v89, v90, v89
	v_fmamk_f16 v90, v14, 0x388b, v83
	v_add_f16_e32 v91, v92, v91
	v_add_f16_e32 v86, v88, v86
	v_fmamk_f16 v88, v13, 0x388b, v47
	v_add_f16_e32 v61, v18, v61
	v_add_f16_e32 v49, v49, v67
	v_mul_f16_e32 v67, 0xba95, v48
	v_fmac_f16_e32 v69, 0x3bf1, v8
	v_add_f16_e32 v68, v19, v68
	v_add_f16_e32 v71, v72, v71
	v_mul_f16_e32 v72, 0x3b7b, v48
	v_add_f16_e32 v75, v76, v75
	v_mul_f16_e32 v76, 0xb3a8, v48
	v_mul_f16_e32 v48, 0xbbf1, v48
	v_add_f16_e32 v77, v78, v77
	v_fmamk_f16 v78, v7, 0x394e, v54
	v_add_f16_e32 v80, v80, v85
	v_fmamk_f16 v85, v7, 0xb770, v53
	;; [unrolled: 2-line block ×3, first 2 shown]
	v_mul_f16_e32 v62, 0x3a95, v39
	v_mul_f16_e32 v43, 0x3b15, v43
	v_fmamk_f16 v92, v13, 0xb5ac, v84
	v_add_f16_e32 v90, v18, v90
	v_add_f16_e32 v61, v88, v61
	;; [unrolled: 1-line block ×4, first 2 shown]
	v_mul_f16_e32 v69, 0xb5ac, v45
	v_add_f16_e32 v51, v78, v51
	v_fmamk_f16 v78, v12, 0x388b, v67
	v_add_f16_e32 v85, v85, v91
	v_fmamk_f16 v91, v12, 0xb5ac, v72
	;; [unrolled: 2-line block ×3, first 2 shown]
	v_fma_f16 v72, v12, 0xb5ac, -v72
	v_add_f16_e32 v33, v38, v32
	v_sub_f16_e32 v4, v36, v30
	v_add_f16_e32 v9, v36, v30
	v_sub_f16_e32 v35, v38, v32
	v_mul_f16_e32 v55, 0x388b, v37
	v_mul_f16_e32 v44, 0x388b, v44
	v_add_f16_e32 v50, v19, v50
	v_fmamk_f16 v93, v15, 0x3770, v43
	v_add_f16_e32 v90, v92, v90
	v_mul_f16_e32 v92, 0xbbc4, v37
	v_add_f16_e32 v78, v78, v89
	v_fmamk_f16 v89, v7, 0xbb7b, v69
	v_add_f16_e32 v61, v87, v61
	v_mul_f16_e32 v87, 0x2fb7, v37
	v_fmac_f16_e32 v54, 0xb94e, v7
	v_add_f16_e32 v36, v49, v36
	v_add_f16_e32 v38, v40, v38
	v_fma_f16 v67, v12, 0x388b, -v67
	v_fmac_f16_e32 v69, 0x3b7b, v7
	v_fmac_f16_e32 v74, 0xb3a8, v7
	v_add_f16_e32 v72, v72, v79
	v_fmamk_f16 v79, v11, 0x388b, v62
	v_add_f16_e32 v31, v42, v29
	v_sub_f16_e32 v34, v42, v29
	v_add_f16_e32 v50, v65, v50
	v_fmamk_f16 v65, v8, 0x3a95, v44
	v_add_f16_e32 v93, v19, v93
	v_mul_f16_e32 v42, 0x33a8, v39
	v_mul_f16_e32 v45, 0x2fb7, v45
	v_add_f16_e32 v52, v54, v52
	v_mul_f16_e32 v54, 0xbbf1, v39
	v_fmac_f16_e32 v70, 0xba95, v7
	v_fmac_f16_e32 v53, 0x3770, v7
	v_add_f16_e32 v67, v67, v71
	v_mul_f16_e32 v71, 0x3770, v39
	v_add_f16_e32 v69, v69, v77
	v_fmamk_f16 v77, v6, 0xba95, v55
	v_add_f16_e32 v74, v74, v81
	v_fmamk_f16 v81, v6, 0xb3a8, v92
	;; [unrolled: 2-line block ×3, first 2 shown]
	v_add_f16_e32 v30, v36, v30
	v_add_f16_e32 v32, v38, v32
	v_mul_f16_e32 v56, 0xb5ac, v31
	v_add_f16_e32 v65, v65, v93
	v_add_f16_e32 v50, v89, v50
	v_fmamk_f16 v89, v12, 0xbbc4, v76
	v_add_f16_e32 v41, v91, v41
	v_fmamk_f16 v91, v7, 0x3bf1, v45
	v_add_f16_e32 v68, v70, v68
	v_mul_f16_e32 v70, 0x3b15, v37
	v_fma_f16 v59, v12, 0x3b15, -v59
	v_add_f16_e32 v53, v53, v73
	v_mul_f16_e32 v73, 0xb9fd, v37
	v_mul_f16_e32 v37, 0xb5ac, v37
	v_add_f16_e32 v51, v77, v51
	v_fmamk_f16 v77, v11, 0xbbc4, v42
	v_add_f16_e32 v81, v81, v82
	v_fmamk_f16 v82, v11, 0x2fb7, v54
	;; [unrolled: 2-line block ×3, first 2 shown]
	v_fmac_f16_e32 v87, 0xbbf1, v6
	v_add_f16_e32 v28, v30, v28
	v_add_f16_e32 v29, v32, v29
	v_mul_f16_e32 v64, 0xbb7b, v34
	v_mul_f16_e32 v93, 0x3b15, v31
	v_add_f16_e32 v89, v89, v90
	v_mul_f16_e32 v90, 0x3770, v34
	v_add_f16_e32 v65, v91, v65
	v_fma_f16 v60, v12, 0xb9fd, -v60
	v_add_f16_e32 v59, v59, v75
	v_mul_f16_e32 v75, 0x394e, v39
	v_mul_f16_e32 v39, 0xbb7b, v39
	v_add_f16_e32 v77, v77, v78
	v_fmamk_f16 v78, v6, 0xb770, v70
	v_add_f16_e32 v63, v82, v63
	v_fmamk_f16 v82, v6, 0xb94e, v73
	;; [unrolled: 2-line block ×3, first 2 shown]
	v_fma_f16 v42, v11, 0xbbc4, -v42
	v_fma_f16 v54, v11, 0x2fb7, -v54
	v_fmac_f16_e32 v70, 0x3770, v6
	v_add_f16_e32 v53, v87, v53
	v_fmamk_f16 v87, v5, 0x3b7b, v56
	v_add_f16_e32 v23, v28, v23
	v_add_f16_e32 v27, v29, v27
	v_mul_f16_e32 v91, 0xbb7b, v35
	v_mul_f16_e32 v49, 0xbbc4, v31
	v_add_f16_e32 v58, v60, v58
	v_mul_f16_e32 v60, 0x33a8, v34
	v_add_f16_e32 v82, v82, v86
	v_fmamk_f16 v86, v11, 0xb5ac, v39
	v_add_f16_e32 v65, v85, v65
	v_mul_f16_e32 v85, 0x388b, v31
	v_fmac_f16_e32 v55, 0x3a95, v6
	v_fma_f16 v62, v11, 0x388b, -v62
	v_add_f16_e32 v42, v42, v67
	v_add_f16_e32 v54, v54, v59
	v_fmamk_f16 v59, v10, 0xb5ac, v64
	v_add_f16_e32 v69, v70, v69
	v_fmamk_f16 v70, v5, 0xb770, v93
	;; [unrolled: 2-line block ×3, first 2 shown]
	v_fma_f16 v90, v10, 0x3b15, -v90
	v_add_f16_e32 v22, v23, v22
	v_add_f16_e32 v23, v27, v26
	;; [unrolled: 1-line block ×3, first 2 shown]
	v_mul_f16_e32 v86, 0xb9fd, v33
	v_mul_f16_e32 v36, 0xba95, v34
	v_fmac_f16_e32 v92, 0x33a8, v6
	v_add_f16_e32 v52, v55, v52
	v_mul_f16_e32 v55, 0x2fb7, v31
	v_add_f16_e32 v58, v62, v58
	v_add_f16_e32 v59, v59, v79
	v_fmamk_f16 v79, v5, 0xb3a8, v49
	v_add_f16_e32 v70, v70, v81
	v_fmamk_f16 v81, v10, 0xbbc4, v60
	;; [unrolled: 2-line block ×3, first 2 shown]
	v_fmamk_f16 v30, v9, 0xb5ac, v91
	v_fma_f16 v64, v10, 0xb5ac, -v64
	v_add_f16_e32 v42, v90, v42
	v_fma_f16 v91, v9, 0xb5ac, -v91
	v_fmac_f16_e32 v85, 0xba95, v5
	v_fma_f16 v71, v11, 0x3b15, -v71
	v_fmac_f16_e32 v73, 0x394e, v6
	v_add_f16_e32 v21, v22, v21
	v_add_f16_e32 v22, v23, v25
	v_mul_f16_e32 v38, 0xb94e, v35
	v_mul_f16_e32 v62, 0x3b15, v33
	v_add_f16_e32 v68, v92, v68
	v_add_f16_e32 v79, v79, v80
	v_fmamk_f16 v80, v10, 0x388b, v36
	v_add_f16_e32 v63, v81, v63
	v_fmamk_f16 v81, v5, 0xbbf1, v55
	v_fmac_f16_e32 v93, 0x3770, v5
	v_add_f16_e32 v58, v64, v58
	v_fmamk_f16 v64, v4, 0x394e, v86
	v_add_f16_e32 v23, v91, v42
	v_add_f16_e32 v20, v21, v20
	;; [unrolled: 1-line block ×4, first 2 shown]
	v_fma_f16 v24, v10, 0x388b, -v36
	v_add_f16_e32 v36, v73, v74
	v_fmac_f16_e32 v55, 0x3bf1, v5
	v_add_f16_e32 v42, v85, v69
	v_fmac_f16_e32 v86, 0xb94e, v4
	v_add_f16_e32 v68, v93, v68
	v_fmamk_f16 v93, v9, 0xb9fd, v38
	v_fmamk_f16 v90, v4, 0xb770, v62
	v_add_f16_e32 v22, v24, v22
	v_fma_f16 v24, v9, 0xb9fd, -v38
	v_add_f16_e32 v36, v55, v36
	v_fmac_f16_e32 v62, 0x3770, v4
	v_add_f16_e32 v38, v86, v42
	v_fma_f16 v42, v14, 0x388b, -v83
	v_fmac_f16_e32 v43, 0xb770, v15
	v_fma_f16 v14, v14, 0x3b15, -v46
	v_add_f16_e32 v50, v78, v50
	v_fmamk_f16 v78, v11, 0xb9fd, v75
	v_mul_f16_e32 v92, 0x3bf1, v34
	v_add_f16_e32 v22, v24, v22
	v_add_f16_e32 v15, v62, v36
	;; [unrolled: 1-line block ×3, first 2 shown]
	v_fma_f16 v36, v13, 0xb5ac, -v84
	v_add_f16_e32 v19, v19, v43
	v_fmac_f16_e32 v44, 0xba95, v8
	v_add_f16_e32 v8, v18, v14
	v_fma_f16 v13, v13, 0x388b, -v47
	v_mul_f16_e32 v57, 0x2fb7, v33
	v_add_f16_e32 v78, v78, v89
	v_mul_f16_e32 v31, 0xb9fd, v31
	v_mul_f16_e32 v34, 0xb94e, v34
	v_add_f16_e32 v50, v87, v50
	v_fmamk_f16 v87, v10, 0x2fb7, v92
	v_add_f16_e32 v14, v36, v24
	v_fma_f16 v18, v12, 0xbbc4, -v76
	v_add_f16_e32 v19, v44, v19
	v_fmac_f16_e32 v45, 0xbbf1, v7
	v_add_f16_e32 v7, v13, v8
	v_fma_f16 v8, v12, 0x2fb7, -v48
	v_mul_f16_e32 v66, 0x3bf1, v35
	v_mul_f16_e32 v88, 0xb5ac, v33
	;; [unrolled: 1-line block ×7, first 2 shown]
	v_add_f16_e32 v41, v80, v41
	v_fmamk_f16 v80, v5, 0x394e, v31
	v_add_f16_e32 v81, v81, v82
	v_fmamk_f16 v82, v10, 0xb9fd, v34
	v_add_f16_e32 v78, v87, v78
	v_fmamk_f16 v87, v4, 0xbbf1, v57
	v_fmac_f16_e32 v56, 0xbb7b, v5
	v_fmac_f16_e32 v49, 0x33a8, v5
	v_fma_f16 v60, v10, 0xbbc4, -v60
	v_add_f16_e32 v12, v18, v14
	v_fma_f16 v13, v11, 0xb9fd, -v75
	v_add_f16_e32 v14, v45, v19
	v_fmac_f16_e32 v37, 0xbb7b, v6
	v_add_f16_e32 v6, v8, v7
	v_fma_f16 v7, v11, 0xb5ac, -v39
	v_add_f16_e32 v65, v80, v65
	v_add_f16_e32 v61, v82, v61
	;; [unrolled: 1-line block ×3, first 2 shown]
	v_fmamk_f16 v56, v9, 0x388b, v89
	v_add_f16_e32 v49, v49, v53
	v_fmamk_f16 v53, v9, 0x3b15, v67
	v_add_f16_e32 v54, v60, v54
	;; [unrolled: 2-line block ×4, first 2 shown]
	v_fma_f16 v11, v10, 0x2fb7, -v92
	v_add_f16_e32 v12, v37, v14
	v_fmac_f16_e32 v31, 0xb94e, v5
	v_add_f16_e32 v5, v7, v6
	v_fma_f16 v6, v10, 0xb9fd, -v34
	v_fmamk_f16 v32, v4, 0xba95, v40
	v_fmamk_f16 v80, v9, 0x2fb7, v66
	;; [unrolled: 1-line block ×3, first 2 shown]
	v_add_f16_e32 v56, v56, v63
	v_add_f16_e32 v63, v90, v81
	;; [unrolled: 1-line block ×5, first 2 shown]
	v_fmac_f16_e32 v57, 0x3bf1, v4
	v_fma_f16 v66, v9, 0x2fb7, -v66
	v_fmac_f16_e32 v88, 0xbb7b, v4
	v_fmac_f16_e32 v40, 0x3a95, v4
	v_fma_f16 v89, v9, 0x388b, -v89
	v_add_f16_e32 v7, v11, v8
	v_fma_f16 v8, v9, 0x3b15, -v67
	v_add_f16_e32 v10, v31, v12
	v_fmac_f16_e32 v33, 0xb3a8, v4
	v_add_f16_e32 v4, v6, v5
	v_fma_f16 v5, v9, 0xbbc4, -v35
	v_add_f16_e32 v32, v32, v79
	v_add_f16_e32 v50, v64, v50
	;; [unrolled: 1-line block ×3, first 2 shown]
	v_pack_b32_f16 v6, v20, v21
	v_add_f16_e32 v59, v80, v59
	v_add_f16_e32 v70, v82, v70
	;; [unrolled: 1-line block ×3, first 2 shown]
	v_pack_b32_f16 v9, v53, v29
	v_pack_b32_f16 v11, v28, v63
	v_add_f16_e32 v26, v57, v52
	v_add_f16_e32 v27, v66, v58
	;; [unrolled: 1-line block ×8, first 2 shown]
	ds_store_b32 v17, v6
	ds_store_2addr_b32 v1, v9, v11 offset0:6 offset1:12
	v_pack_b32_f16 v5, v41, v50
	v_pack_b32_f16 v6, v56, v32
	;; [unrolled: 1-line block ×10, first 2 shown]
	ds_store_2addr_b32 v1, v5, v6 offset0:18 offset1:24
	ds_store_2addr_b32 v1, v9, v10 offset0:30 offset1:36
	ds_store_2addr_b32 v1, v11, v12 offset0:42 offset1:48
	ds_store_2addr_b32 v1, v13, v14 offset0:54 offset1:60
	ds_store_2addr_b32 v1, v7, v4 offset0:66 offset1:72
.LBB0_20:
	s_wait_alu 0xfffe
	s_or_b32 exec_lo, exec_lo, s1
	global_wb scope:SCOPE_SE
	s_wait_dscnt 0x0
	s_barrier_signal -1
	s_barrier_wait -1
	global_inv scope:SCOPE_SE
	s_and_saveexec_b32 s0, vcc_lo
	s_cbranch_execz .LBB0_22
; %bb.21:
	v_mov_b32_e32 v1, 0
	v_add_co_u32 v18, vcc_lo, s8, v2
	v_add_nc_u32_e32 v2, 13, v0
	v_lshl_add_u32 v16, v0, 2, v16
	s_wait_alu 0xfffd
	v_add_co_ci_u32_e32 v19, vcc_lo, s9, v3, vcc_lo
	v_dual_mov_b32 v3, v1 :: v_dual_add_nc_u32 v8, 26, v0
	v_lshlrev_b64_e32 v[4:5], 2, v[0:1]
	v_dual_mov_b32 v9, v1 :: v_dual_add_nc_u32 v10, 39, v0
	ds_load_2addr_b32 v[6:7], v16 offset1:13
	v_lshlrev_b64_e32 v[2:3], 2, v[2:3]
	v_dual_mov_b32 v11, v1 :: v_dual_add_nc_u32 v14, 52, v0
	ds_load_2addr_b32 v[12:13], v16 offset0:26 offset1:39
	v_add_co_u32 v4, vcc_lo, v18, v4
	v_lshlrev_b64_e32 v[8:9], 2, v[8:9]
	v_dual_mov_b32 v15, v1 :: v_dual_add_nc_u32 v0, 0x41, v0
	ds_load_2addr_b32 v[16:17], v16 offset0:52 offset1:65
	s_wait_alu 0xfffd
	v_add_co_ci_u32_e32 v5, vcc_lo, v19, v5, vcc_lo
	v_add_co_u32 v2, vcc_lo, v18, v2
	v_lshlrev_b64_e32 v[10:11], 2, v[10:11]
	s_wait_alu 0xfffd
	v_add_co_ci_u32_e32 v3, vcc_lo, v19, v3, vcc_lo
	v_add_co_u32 v8, vcc_lo, v18, v8
	v_lshlrev_b64_e32 v[14:15], 2, v[14:15]
	;; [unrolled: 4-line block ×3, first 2 shown]
	s_wait_alu 0xfffd
	v_add_co_ci_u32_e32 v11, vcc_lo, v19, v11, vcc_lo
	v_add_co_u32 v14, vcc_lo, v18, v14
	s_wait_alu 0xfffd
	v_add_co_ci_u32_e32 v15, vcc_lo, v19, v15, vcc_lo
	v_add_co_u32 v0, vcc_lo, v18, v0
	s_wait_alu 0xfffd
	v_add_co_ci_u32_e32 v1, vcc_lo, v19, v1, vcc_lo
	s_wait_dscnt 0x2
	s_clause 0x1
	global_store_b32 v[4:5], v6, off
	global_store_b32 v[2:3], v7, off
	s_wait_dscnt 0x1
	s_clause 0x1
	global_store_b32 v[8:9], v12, off
	global_store_b32 v[10:11], v13, off
	;; [unrolled: 4-line block ×3, first 2 shown]
.LBB0_22:
	s_nop 0
	s_sendmsg sendmsg(MSG_DEALLOC_VGPRS)
	s_endpgm
	.section	.rodata,"a",@progbits
	.p2align	6, 0x0
	.amdhsa_kernel fft_rtc_back_len78_factors_6_13_wgs_247_tpt_13_half_ip_CI_unitstride_sbrr_C2R_dirReg
		.amdhsa_group_segment_fixed_size 0
		.amdhsa_private_segment_fixed_size 0
		.amdhsa_kernarg_size 88
		.amdhsa_user_sgpr_count 2
		.amdhsa_user_sgpr_dispatch_ptr 0
		.amdhsa_user_sgpr_queue_ptr 0
		.amdhsa_user_sgpr_kernarg_segment_ptr 1
		.amdhsa_user_sgpr_dispatch_id 0
		.amdhsa_user_sgpr_private_segment_size 0
		.amdhsa_wavefront_size32 1
		.amdhsa_uses_dynamic_stack 0
		.amdhsa_enable_private_segment 0
		.amdhsa_system_sgpr_workgroup_id_x 1
		.amdhsa_system_sgpr_workgroup_id_y 0
		.amdhsa_system_sgpr_workgroup_id_z 0
		.amdhsa_system_sgpr_workgroup_info 0
		.amdhsa_system_vgpr_workitem_id 0
		.amdhsa_next_free_vgpr 94
		.amdhsa_next_free_sgpr 32
		.amdhsa_reserve_vcc 1
		.amdhsa_float_round_mode_32 0
		.amdhsa_float_round_mode_16_64 0
		.amdhsa_float_denorm_mode_32 3
		.amdhsa_float_denorm_mode_16_64 3
		.amdhsa_fp16_overflow 0
		.amdhsa_workgroup_processor_mode 1
		.amdhsa_memory_ordered 1
		.amdhsa_forward_progress 0
		.amdhsa_round_robin_scheduling 0
		.amdhsa_exception_fp_ieee_invalid_op 0
		.amdhsa_exception_fp_denorm_src 0
		.amdhsa_exception_fp_ieee_div_zero 0
		.amdhsa_exception_fp_ieee_overflow 0
		.amdhsa_exception_fp_ieee_underflow 0
		.amdhsa_exception_fp_ieee_inexact 0
		.amdhsa_exception_int_div_zero 0
	.end_amdhsa_kernel
	.text
.Lfunc_end0:
	.size	fft_rtc_back_len78_factors_6_13_wgs_247_tpt_13_half_ip_CI_unitstride_sbrr_C2R_dirReg, .Lfunc_end0-fft_rtc_back_len78_factors_6_13_wgs_247_tpt_13_half_ip_CI_unitstride_sbrr_C2R_dirReg
                                        ; -- End function
	.section	.AMDGPU.csdata,"",@progbits
; Kernel info:
; codeLenInByte = 6680
; NumSgprs: 34
; NumVgprs: 94
; ScratchSize: 0
; MemoryBound: 0
; FloatMode: 240
; IeeeMode: 1
; LDSByteSize: 0 bytes/workgroup (compile time only)
; SGPRBlocks: 4
; VGPRBlocks: 11
; NumSGPRsForWavesPerEU: 34
; NumVGPRsForWavesPerEU: 94
; Occupancy: 16
; WaveLimiterHint : 1
; COMPUTE_PGM_RSRC2:SCRATCH_EN: 0
; COMPUTE_PGM_RSRC2:USER_SGPR: 2
; COMPUTE_PGM_RSRC2:TRAP_HANDLER: 0
; COMPUTE_PGM_RSRC2:TGID_X_EN: 1
; COMPUTE_PGM_RSRC2:TGID_Y_EN: 0
; COMPUTE_PGM_RSRC2:TGID_Z_EN: 0
; COMPUTE_PGM_RSRC2:TIDIG_COMP_CNT: 0
	.text
	.p2alignl 7, 3214868480
	.fill 96, 4, 3214868480
	.type	__hip_cuid_bc5cada02c2220c,@object ; @__hip_cuid_bc5cada02c2220c
	.section	.bss,"aw",@nobits
	.globl	__hip_cuid_bc5cada02c2220c
__hip_cuid_bc5cada02c2220c:
	.byte	0                               ; 0x0
	.size	__hip_cuid_bc5cada02c2220c, 1

	.ident	"AMD clang version 19.0.0git (https://github.com/RadeonOpenCompute/llvm-project roc-6.4.0 25133 c7fe45cf4b819c5991fe208aaa96edf142730f1d)"
	.section	".note.GNU-stack","",@progbits
	.addrsig
	.addrsig_sym __hip_cuid_bc5cada02c2220c
	.amdgpu_metadata
---
amdhsa.kernels:
  - .args:
      - .actual_access:  read_only
        .address_space:  global
        .offset:         0
        .size:           8
        .value_kind:     global_buffer
      - .offset:         8
        .size:           8
        .value_kind:     by_value
      - .actual_access:  read_only
        .address_space:  global
        .offset:         16
        .size:           8
        .value_kind:     global_buffer
      - .actual_access:  read_only
        .address_space:  global
        .offset:         24
        .size:           8
        .value_kind:     global_buffer
      - .offset:         32
        .size:           8
        .value_kind:     by_value
      - .actual_access:  read_only
        .address_space:  global
        .offset:         40
        .size:           8
        .value_kind:     global_buffer
      - .actual_access:  read_only
        .address_space:  global
        .offset:         48
        .size:           8
        .value_kind:     global_buffer
      - .offset:         56
        .size:           4
        .value_kind:     by_value
      - .actual_access:  read_only
        .address_space:  global
        .offset:         64
        .size:           8
        .value_kind:     global_buffer
      - .actual_access:  read_only
        .address_space:  global
        .offset:         72
        .size:           8
        .value_kind:     global_buffer
      - .address_space:  global
        .offset:         80
        .size:           8
        .value_kind:     global_buffer
    .group_segment_fixed_size: 0
    .kernarg_segment_align: 8
    .kernarg_segment_size: 88
    .language:       OpenCL C
    .language_version:
      - 2
      - 0
    .max_flat_workgroup_size: 247
    .name:           fft_rtc_back_len78_factors_6_13_wgs_247_tpt_13_half_ip_CI_unitstride_sbrr_C2R_dirReg
    .private_segment_fixed_size: 0
    .sgpr_count:     34
    .sgpr_spill_count: 0
    .symbol:         fft_rtc_back_len78_factors_6_13_wgs_247_tpt_13_half_ip_CI_unitstride_sbrr_C2R_dirReg.kd
    .uniform_work_group_size: 1
    .uses_dynamic_stack: false
    .vgpr_count:     94
    .vgpr_spill_count: 0
    .wavefront_size: 32
    .workgroup_processor_mode: 1
amdhsa.target:   amdgcn-amd-amdhsa--gfx1201
amdhsa.version:
  - 1
  - 2
...

	.end_amdgpu_metadata
